;; amdgpu-corpus repo=ROCm/rocFFT kind=compiled arch=gfx1201 opt=O3
	.text
	.amdgcn_target "amdgcn-amd-amdhsa--gfx1201"
	.amdhsa_code_object_version 6
	.protected	fft_rtc_fwd_len50_factors_10_5_wgs_50_tpt_5_sp_op_CI_CI_sbrc_z_xy_unaligned ; -- Begin function fft_rtc_fwd_len50_factors_10_5_wgs_50_tpt_5_sp_op_CI_CI_sbrc_z_xy_unaligned
	.globl	fft_rtc_fwd_len50_factors_10_5_wgs_50_tpt_5_sp_op_CI_CI_sbrc_z_xy_unaligned
	.p2align	8
	.type	fft_rtc_fwd_len50_factors_10_5_wgs_50_tpt_5_sp_op_CI_CI_sbrc_z_xy_unaligned,@function
fft_rtc_fwd_len50_factors_10_5_wgs_50_tpt_5_sp_op_CI_CI_sbrc_z_xy_unaligned: ; @fft_rtc_fwd_len50_factors_10_5_wgs_50_tpt_5_sp_op_CI_CI_sbrc_z_xy_unaligned
; %bb.0:
	s_load_b256 s[4:11], s[0:1], 0x0
	s_mov_b32 s27, 0
	s_wait_kmcnt 0x0
	s_load_b128 s[12:15], s[8:9], 0x8
	s_load_b32 s26, s[10:11], 0x10
	s_wait_kmcnt 0x0
	s_add_co_i32 s2, s12, -1
	s_delay_alu instid0(SALU_CYCLE_1) | instskip(NEXT) | instid1(SALU_CYCLE_1)
	s_mul_hi_u32 s2, s2, 0xcccccccd
	s_lshr_b32 s3, s2, 3
	s_delay_alu instid0(SALU_CYCLE_1) | instskip(NEXT) | instid1(SALU_CYCLE_1)
	s_add_co_i32 s8, s3, 1
	s_mul_i32 s9, s8, s14
	s_cvt_f32_u32 s13, s8
	s_cvt_f32_u32 s2, s9
	s_sub_co_i32 s14, 0, s9
	s_delay_alu instid0(SALU_CYCLE_2) | instskip(NEXT) | instid1(TRANS32_DEP_1)
	v_rcp_iflag_f32_e32 v1, s2
	v_readfirstlane_b32 s2, v1
	v_rcp_iflag_f32_e32 v1, s13
	s_delay_alu instid0(VALU_DEP_1) | instskip(SKIP_1) | instid1(SALU_CYCLE_2)
	s_mul_f32 s2, s2, 0x4f7ffffe
	s_wait_alu 0xfffe
	s_cvt_u32_f32 s2, s2
	s_wait_alu 0xfffe
	s_delay_alu instid0(SALU_CYCLE_2) | instskip(NEXT) | instid1(SALU_CYCLE_1)
	s_mul_i32 s14, s14, s2
	s_mul_hi_u32 s13, s2, s14
	s_delay_alu instid0(TRANS32_DEP_1)
	v_readfirstlane_b32 s14, v1
	s_wait_alu 0xfffe
	s_add_co_i32 s2, s2, s13
	v_mul_u32_u24_e32 v1, 0x51f, v0
	s_wait_alu 0xfffe
	s_mul_hi_u32 s2, ttmp9, s2
	s_mul_f32 s14, s14, 0x4f7ffffe
	s_wait_alu 0xfffe
	s_mul_i32 s13, s2, s9
	s_add_co_i32 s15, s2, 1
	s_wait_alu 0xfffe
	s_sub_co_i32 s13, ttmp9, s13
	v_lshrrev_b32_e32 v3, 16, v1
	s_wait_alu 0xfffe
	s_sub_co_i32 s16, s13, s9
	s_cmp_ge_u32 s13, s9
	s_cselect_b32 s2, s15, s2
	s_cselect_b32 s13, s16, s13
	s_wait_alu 0xfffe
	s_add_co_i32 s15, s2, 1
	s_cmp_ge_u32 s13, s9
	s_cvt_u32_f32 s13, s14
	s_cselect_b32 s2, s15, s2
	s_not_b32 s3, s3
	s_wait_alu 0xfffe
	s_mul_i32 s9, s2, s9
	s_mul_i32 s3, s3, s13
	s_sub_co_i32 s9, ttmp9, s9
	s_wait_alu 0xfffe
	s_mul_hi_u32 s3, s13, s3
	s_load_b64 s[14:15], s[0:1], 0x20
	s_add_co_i32 s13, s13, s3
	v_mul_lo_u16 v1, v3, 50
	s_wait_alu 0xfffe
	s_mul_hi_u32 s3, s9, s13
	s_mul_hi_u32 s13, ttmp9, s13
	s_wait_alu 0xfffe
	s_mul_i32 s16, s3, s8
	s_delay_alu instid0(SALU_CYCLE_1)
	s_sub_co_i32 s9, s9, s16
	s_add_co_i32 s16, s3, 1
	s_sub_co_i32 s17, s9, s8
	s_cmp_ge_u32 s9, s8
	v_sub_nc_u16 v1, v0, v1
	s_cselect_b32 s3, s16, s3
	s_cselect_b32 s9, s17, s9
	s_wait_alu 0xfffe
	s_add_co_i32 s16, s3, 1
	s_cmp_ge_u32 s9, s8
	s_mul_i32 s9, s13, s8
	s_cselect_b32 s13, s16, s3
	s_load_b128 s[16:19], s[10:11], 0x0
	s_sub_co_i32 s3, ttmp9, s9
	v_and_b32_e32 v4, 0xffff, v1
	s_wait_alu 0xfffe
	s_sub_co_i32 s9, s3, s8
	s_cmp_ge_u32 s3, s8
	s_cselect_b32 s3, s9, s3
	s_wait_alu 0xfffe
	s_sub_co_i32 s9, s3, s8
	s_cmp_ge_u32 s3, s8
	s_wait_kmcnt 0x0
	s_cselect_b32 s19, s9, s3
	s_lshl_b64 s[6:7], s[6:7], 3
	s_mov_b32 s3, s27
	s_add_nc_u64 s[8:9], s[10:11], s[6:7]
	s_load_b64 s[22:23], s[0:1], 0x58
	s_load_b64 s[24:25], s[8:9], 0x0
	s_add_nc_u64 s[20:21], s[14:15], s[6:7]
	s_clause 0x2
	s_load_b128 s[8:11], s[14:15], 0x0
	s_load_b64 s[6:7], s[14:15], 0x10
	s_load_b64 s[20:21], s[20:21], 0x0
	s_mul_i32 s14, s19, 10
	s_wait_kmcnt 0x0
	s_mul_i32 s7, s13, s26
	s_mul_i32 s15, s14, s18
	s_add_co_i32 s19, s14, 10
	s_add_co_i32 s26, s15, s7
	s_cmp_le_u32 s19, s12
	s_mov_b32 s11, -1
	s_cselect_b32 s7, -1, 0
	s_delay_alu instid0(SALU_CYCLE_1) | instskip(SKIP_1) | instid1(SALU_CYCLE_1)
	s_and_b32 vcc_lo, exec_lo, s7
	s_mul_u64 s[24:25], s[24:25], s[2:3]
	s_add_nc_u64 s[24:25], s[24:25], s[26:27]
	s_cbranch_vccnz .LBB0_5
; %bb.1:
	v_add_nc_u32_e32 v5, s14, v3
	s_mov_b32 s11, exec_lo
	s_delay_alu instid0(VALU_DEP_1)
	v_cmpx_gt_u32_e64 s12, v5
	s_cbranch_execz .LBB0_4
; %bb.2:
	v_mad_co_u64_u32 v[1:2], null, s16, v4, 0
	s_lshl_b64 s[26:27], s[24:25], 3
	s_mov_b32 s15, 0
	s_add_nc_u64 s[26:27], s[22:23], s[26:27]
	v_lshlrev_b32_e32 v9, 3, v4
	s_delay_alu instid0(VALU_DEP_2) | instskip(NEXT) | instid1(VALU_DEP_1)
	v_mad_co_u64_u32 v[6:7], null, s17, v4, v[2:3]
	v_mov_b32_e32 v2, v6
	v_mul_u32_u24_e32 v6, 0x190, v3
	s_delay_alu instid0(VALU_DEP_2) | instskip(SKIP_1) | instid1(VALU_DEP_3)
	v_lshlrev_b64_e32 v[7:8], 3, v[1:2]
	v_mul_lo_u32 v1, v3, s18
	v_add3_u32 v6, v6, v9, 0
	v_mov_b32_e32 v2, 0
	s_delay_alu instid0(VALU_DEP_4)
	v_add_co_u32 v7, vcc_lo, s26, v7
	v_add_co_ci_u32_e32 v8, vcc_lo, s27, v8, vcc_lo
.LBB0_3:                                ; =>This Inner Loop Header: Depth=1
	s_delay_alu instid0(VALU_DEP_3) | instskip(SKIP_2) | instid1(VALU_DEP_3)
	v_lshlrev_b64_e32 v[9:10], 3, v[1:2]
	v_add_nc_u32_e32 v5, 1, v5
	v_add_nc_u32_e32 v1, s18, v1
	v_add_co_u32 v9, vcc_lo, v7, v9
	s_wait_alu 0xfffd
	s_delay_alu instid0(VALU_DEP_4)
	v_add_co_ci_u32_e32 v10, vcc_lo, v8, v10, vcc_lo
	v_cmp_le_u32_e32 vcc_lo, s12, v5
	global_load_b64 v[9:10], v[9:10], off
	s_wait_alu 0xfffe
	s_or_b32 s15, vcc_lo, s15
	s_wait_loadcnt 0x0
	ds_store_b64 v6, v[9:10]
	v_add_nc_u32_e32 v6, 0x190, v6
	s_wait_alu 0xfffe
	s_and_not1_b32 exec_lo, exec_lo, s15
	s_cbranch_execnz .LBB0_3
.LBB0_4:
	s_or_b32 exec_lo, exec_lo, s11
	s_mov_b32 s11, 0
.LBB0_5:
	s_delay_alu instid0(SALU_CYCLE_1)
	s_and_not1_b32 vcc_lo, exec_lo, s11
	s_wait_alu 0xfffe
	s_cbranch_vccnz .LBB0_7
; %bb.6:
	v_mad_co_u64_u32 v[1:2], null, s16, v4, 0
	v_mul_lo_u32 v5, s18, v3
	v_mov_b32_e32 v6, 0
	s_delay_alu instid0(VALU_DEP_3) | instskip(NEXT) | instid1(VALU_DEP_2)
	v_mad_co_u64_u32 v[9:10], null, s17, v4, v[2:3]
	v_lshlrev_b64_e32 v[7:8], 3, v[5:6]
	v_add_nc_u32_e32 v5, s18, v5
	s_lshl_b64 s[16:17], s[24:25], 3
	v_mul_u32_u24_e32 v3, 0x190, v3
	s_wait_alu 0xfffe
	s_add_nc_u64 s[16:17], s[22:23], s[16:17]
	v_lshlrev_b32_e32 v4, 3, v4
	v_lshlrev_b64_e32 v[10:11], 3, v[5:6]
	v_dual_mov_b32 v2, v9 :: v_dual_add_nc_u32 v5, s18, v5
	s_delay_alu instid0(VALU_DEP_3) | instskip(NEXT) | instid1(VALU_DEP_2)
	v_add3_u32 v3, 0, v3, v4
	v_lshlrev_b64_e32 v[12:13], 3, v[5:6]
	s_delay_alu instid0(VALU_DEP_3) | instskip(SKIP_1) | instid1(VALU_DEP_4)
	v_lshlrev_b64_e32 v[1:2], 3, v[1:2]
	v_add_nc_u32_e32 v5, s18, v5
	v_add_nc_u32_e32 v4, 0x800, v3
	s_delay_alu instid0(VALU_DEP_2) | instskip(SKIP_1) | instid1(VALU_DEP_4)
	v_lshlrev_b64_e32 v[14:15], 3, v[5:6]
	s_wait_alu 0xfffe
	v_add_co_u32 v23, vcc_lo, s16, v1
	s_wait_alu 0xfffd
	v_add_co_ci_u32_e32 v24, vcc_lo, s17, v2, vcc_lo
	v_add_nc_u32_e32 v5, s18, v5
	s_delay_alu instid0(VALU_DEP_3) | instskip(SKIP_1) | instid1(VALU_DEP_3)
	v_add_co_u32 v7, vcc_lo, v23, v7
	s_wait_alu 0xfffd
	v_add_co_ci_u32_e32 v8, vcc_lo, v24, v8, vcc_lo
	v_add_co_u32 v9, vcc_lo, v23, v10
	s_wait_alu 0xfffd
	v_add_co_ci_u32_e32 v10, vcc_lo, v24, v11, vcc_lo
	v_lshlrev_b64_e32 v[1:2], 3, v[5:6]
	v_add_co_u32 v11, vcc_lo, v23, v12
	v_add_nc_u32_e32 v5, s18, v5
	s_wait_alu 0xfffd
	v_add_co_ci_u32_e32 v12, vcc_lo, v24, v13, vcc_lo
	v_add_co_u32 v13, vcc_lo, v23, v14
	s_wait_alu 0xfffd
	v_add_co_ci_u32_e32 v14, vcc_lo, v24, v15, vcc_lo
	v_lshlrev_b64_e32 v[15:16], 3, v[5:6]
	v_add_nc_u32_e32 v5, s18, v5
	v_add_co_u32 v1, vcc_lo, v23, v1
	s_wait_alu 0xfffd
	v_add_co_ci_u32_e32 v2, vcc_lo, v24, v2, vcc_lo
	s_delay_alu instid0(VALU_DEP_3) | instskip(SKIP_4) | instid1(VALU_DEP_3)
	v_lshlrev_b64_e32 v[17:18], 3, v[5:6]
	v_add_nc_u32_e32 v5, s18, v5
	v_add_co_u32 v15, vcc_lo, v23, v15
	s_wait_alu 0xfffd
	v_add_co_ci_u32_e32 v16, vcc_lo, v24, v16, vcc_lo
	v_lshlrev_b64_e32 v[19:20], 3, v[5:6]
	v_add_nc_u32_e32 v5, s18, v5
	v_add_co_u32 v17, vcc_lo, v23, v17
	s_wait_alu 0xfffd
	v_add_co_ci_u32_e32 v18, vcc_lo, v24, v18, vcc_lo
	s_delay_alu instid0(VALU_DEP_3) | instskip(SKIP_4) | instid1(VALU_DEP_3)
	v_lshlrev_b64_e32 v[21:22], 3, v[5:6]
	v_add_nc_u32_e32 v5, s18, v5
	v_add_co_u32 v19, vcc_lo, v23, v19
	s_wait_alu 0xfffd
	v_add_co_ci_u32_e32 v20, vcc_lo, v24, v20, vcc_lo
	v_lshlrev_b64_e32 v[5:6], 3, v[5:6]
	v_add_co_u32 v21, vcc_lo, v23, v21
	s_wait_alu 0xfffd
	v_add_co_ci_u32_e32 v22, vcc_lo, v24, v22, vcc_lo
	s_clause 0x3
	global_load_b64 v[7:8], v[7:8], off
	global_load_b64 v[9:10], v[9:10], off
	global_load_b64 v[11:12], v[11:12], off
	global_load_b64 v[13:14], v[13:14], off
	v_add_co_u32 v5, vcc_lo, v23, v5
	s_wait_alu 0xfffd
	v_add_co_ci_u32_e32 v6, vcc_lo, v24, v6, vcc_lo
	s_clause 0x5
	global_load_b64 v[1:2], v[1:2], off
	global_load_b64 v[15:16], v[15:16], off
	;; [unrolled: 1-line block ×6, first 2 shown]
	s_wait_loadcnt 0x8
	ds_store_2addr_b64 v3, v[7:8], v[9:10] offset1:50
	s_wait_loadcnt 0x6
	ds_store_2addr_b64 v3, v[11:12], v[13:14] offset0:100 offset1:150
	s_wait_loadcnt 0x4
	ds_store_2addr_b64 v3, v[1:2], v[15:16] offset0:200 offset1:250
	;; [unrolled: 2-line block ×4, first 2 shown]
.LBB0_7:
	v_and_b32_e32 v1, 0xffff, v0
	v_mul_hi_u32 v3, 0x33333334, v0
	global_wb scope:SCOPE_SE
	s_wait_dscnt 0x0
	s_barrier_signal -1
	s_barrier_wait -1
	v_mul_u32_u24_e32 v1, 0x3334, v1
	global_inv scope:SCOPE_SE
	v_mul_u32_u24_e32 v3, 5, v3
	v_lshrrev_b32_e32 v1, 16, v1
	s_delay_alu instid0(VALU_DEP_1) | instskip(NEXT) | instid1(VALU_DEP_1)
	v_add_nc_u32_e32 v1, s14, v1
	v_mul_hi_u32 v2, 0xcccccccd, v1
	s_delay_alu instid0(VALU_DEP_1) | instskip(NEXT) | instid1(VALU_DEP_1)
	v_lshrrev_b32_e32 v2, 3, v2
	v_mul_lo_u32 v2, v2, 10
	s_delay_alu instid0(VALU_DEP_1) | instskip(SKIP_1) | instid1(VALU_DEP_2)
	v_sub_nc_u32_e32 v1, v1, v2
	v_sub_nc_u32_e32 v2, v0, v3
	v_mul_u32_u24_e32 v1, 50, v1
	s_delay_alu instid0(VALU_DEP_2) | instskip(NEXT) | instid1(VALU_DEP_2)
	v_lshlrev_b32_e32 v3, 3, v2
	v_lshlrev_b32_e32 v4, 3, v1
	s_delay_alu instid0(VALU_DEP_1)
	v_add3_u32 v1, 0, v3, v4
	v_add3_u32 v3, 0, v4, v3
	ds_load_2addr_b64 v[4:7], v1 offset0:5 offset1:10
	ds_load_2addr_b64 v[8:11], v1 offset0:15 offset1:20
	ds_load_b64 v[20:21], v3
	ds_load_2addr_b64 v[12:15], v1 offset0:25 offset1:30
	ds_load_2addr_b64 v[16:19], v1 offset0:35 offset1:40
	ds_load_b64 v[22:23], v1 offset:360
	global_wb scope:SCOPE_SE
	s_wait_dscnt 0x0
	s_barrier_signal -1
	s_barrier_wait -1
	global_inv scope:SCOPE_SE
	v_sub_f32_e32 v31, v10, v6
	v_add_f32_e32 v24, v20, v6
	v_dual_add_f32 v25, v10, v14 :: v_dual_add_f32 v38, v7, v19
	v_dual_sub_f32 v27, v11, v15 :: v_dual_sub_f32 v28, v6, v10
	v_dual_sub_f32 v29, v18, v14 :: v_dual_sub_f32 v36, v7, v11
	v_dual_add_f32 v30, v6, v18 :: v_dual_add_f32 v33, v21, v7
	v_dual_sub_f32 v32, v14, v18 :: v_dual_sub_f32 v37, v19, v15
	v_add_f32_e32 v34, v11, v15
	v_sub_f32_e32 v26, v7, v19
	v_dual_sub_f32 v6, v6, v18 :: v_dual_sub_f32 v7, v11, v7
	v_dual_sub_f32 v35, v10, v14 :: v_dual_add_f32 v40, v4, v8
	v_dual_sub_f32 v39, v15, v19 :: v_dual_sub_f32 v44, v8, v12
	v_dual_add_f32 v41, v12, v16 :: v_dual_sub_f32 v42, v9, v23
	v_dual_sub_f32 v45, v22, v16 :: v_dual_sub_f32 v48, v16, v22
	v_dual_add_f32 v10, v24, v10 :: v_dual_add_f32 v11, v33, v11
	v_fma_f32 v24, -0.5, v25, v20
	v_dual_add_f32 v25, v28, v29 :: v_dual_add_f32 v28, v31, v32
	v_fma_f32 v20, -0.5, v30, v20
	v_fma_f32 v29, -0.5, v34, v21
	v_dual_add_f32 v30, v36, v37 :: v_dual_fmac_f32 v21, -0.5, v38
	v_dual_sub_f32 v43, v13, v17 :: v_dual_add_f32 v46, v8, v22
	v_dual_add_f32 v7, v7, v39 :: v_dual_fmamk_f32 v36, v26, 0x3f737871, v24
	v_dual_add_f32 v31, v40, v12 :: v_dual_fmac_f32 v24, 0xbf737871, v26
	v_fma_f32 v32, -0.5, v41, v4
	v_add_f32_e32 v33, v44, v45
	v_dual_fmamk_f32 v37, v27, 0xbf737871, v20 :: v_dual_fmamk_f32 v38, v6, 0xbf737871, v29
	v_dual_fmac_f32 v20, 0x3f737871, v27 :: v_dual_fmamk_f32 v39, v35, 0x3f737871, v21
	v_fmac_f32_e32 v21, 0xbf737871, v35
	v_sub_f32_e32 v47, v12, v8
	v_fma_f32 v34, -0.5, v46, v4
	v_add_f32_e32 v4, v10, v14
	v_dual_add_f32 v10, v11, v15 :: v_dual_fmac_f32 v29, 0x3f737871, v6
	v_fmamk_f32 v14, v42, 0x3f737871, v32
	v_fmac_f32_e32 v32, 0xbf737871, v42
	v_dual_fmac_f32 v24, 0xbf167918, v27 :: v_dual_fmac_f32 v39, 0xbf167918, v6
	s_delay_alu instid0(VALU_DEP_4) | instskip(NEXT) | instid1(VALU_DEP_4)
	v_dual_fmac_f32 v20, 0xbf167918, v26 :: v_dual_add_f32 v19, v10, v19
	v_dual_fmac_f32 v21, 0x3f167918, v6 :: v_dual_fmac_f32 v14, 0x3f167918, v43
	v_dual_add_f32 v11, v31, v16 :: v_dual_add_f32 v18, v4, v18
	v_dual_fmamk_f32 v15, v43, 0xbf737871, v34 :: v_dual_add_f32 v6, v13, v17
	s_delay_alu instid0(VALU_DEP_4) | instskip(NEXT) | instid1(VALU_DEP_4)
	v_dual_fmac_f32 v20, 0x3e9e377a, v28 :: v_dual_fmac_f32 v39, 0x3e9e377a, v7
	v_dual_fmac_f32 v21, 0x3e9e377a, v7 :: v_dual_add_f32 v4, v47, v48
	v_add_f32_e32 v7, v9, v23
	v_dual_fmac_f32 v36, 0x3f167918, v27 :: v_dual_fmac_f32 v37, 0x3f167918, v26
	v_dual_fmac_f32 v29, 0x3f167918, v35 :: v_dual_add_f32 v26, v11, v22
	v_dual_fmac_f32 v15, 0x3f167918, v42 :: v_dual_add_f32 v10, v5, v9
	v_fma_f32 v11, -0.5, v6, v5
	v_sub_f32_e32 v6, v8, v22
	v_fmac_f32_e32 v34, 0x3f737871, v43
	v_sub_f32_e32 v8, v12, v16
	v_fma_f32 v5, -0.5, v7, v5
	v_fmac_f32_e32 v38, 0xbf167918, v35
	v_dual_fmamk_f32 v7, v6, 0xbf737871, v11 :: v_dual_sub_f32 v12, v17, v23
	v_fmac_f32_e32 v11, 0x3f737871, v6
	v_fmac_f32_e32 v34, 0xbf167918, v42
	v_fmamk_f32 v16, v8, 0x3f737871, v5
	v_fmac_f32_e32 v5, 0xbf737871, v8
	v_fmac_f32_e32 v32, 0xbf167918, v43
	v_dual_fmac_f32 v14, 0x3e9e377a, v33 :: v_dual_fmac_f32 v15, 0x3e9e377a, v4
	v_fmac_f32_e32 v7, 0xbf167918, v8
	s_delay_alu instid0(VALU_DEP_4)
	v_fmac_f32_e32 v5, 0x3f167918, v6
	v_fmac_f32_e32 v34, 0x3e9e377a, v4
	v_dual_add_f32 v4, v10, v13 :: v_dual_fmac_f32 v11, 0x3f167918, v8
	v_sub_f32_e32 v10, v9, v13
	v_sub_f32_e32 v9, v13, v9
	;; [unrolled: 1-line block ×3, first 2 shown]
	s_delay_alu instid0(VALU_DEP_4) | instskip(NEXT) | instid1(VALU_DEP_3)
	v_dual_add_f32 v4, v4, v17 :: v_dual_mul_f32 v17, 0x3f4f1bbd, v14
	v_dual_fmac_f32 v38, 0x3e9e377a, v30 :: v_dual_add_f32 v9, v9, v12
	s_delay_alu instid0(VALU_DEP_3) | instskip(SKIP_1) | instid1(VALU_DEP_4)
	v_add_f32_e32 v10, v10, v13
	v_fmac_f32_e32 v32, 0x3e9e377a, v33
	v_dual_fmac_f32 v16, 0xbf167918, v6 :: v_dual_add_f32 v23, v4, v23
	v_dual_fmac_f32 v36, 0x3e9e377a, v25 :: v_dual_fmac_f32 v37, 0x3e9e377a, v28
	s_delay_alu instid0(VALU_DEP_4) | instskip(SKIP_2) | instid1(VALU_DEP_3)
	v_fmac_f32_e32 v7, 0x3e9e377a, v10
	v_dual_fmac_f32 v5, 0x3e9e377a, v9 :: v_dual_mul_f32 v6, 0x3e9e377a, v34
	v_dual_fmac_f32 v24, 0x3e9e377a, v25 :: v_dual_fmac_f32 v29, 0x3e9e377a, v30
	v_fmac_f32_e32 v17, 0x3f167918, v7
	v_dual_fmac_f32 v16, 0x3e9e377a, v9 :: v_dual_fmac_f32 v11, 0x3e9e377a, v10
	v_dual_mul_f32 v9, 0x3f4f1bbd, v32 :: v_dual_add_f32 v4, v18, v26
	v_fma_f32 v25, 0x3f737871, v5, -v6
	s_delay_alu instid0(VALU_DEP_4) | instskip(SKIP_1) | instid1(VALU_DEP_4)
	v_add_f32_e32 v6, v36, v17
	v_mul_f32_e32 v5, 0x3e9e377a, v5
	v_fma_f32 v27, 0x3f167918, v11, -v9
	v_mul_f32_e32 v9, 0x3f4f1bbd, v11
	s_delay_alu instid0(VALU_DEP_3) | instskip(SKIP_1) | instid1(VALU_DEP_3)
	v_fma_f32 v31, 0xbf737871, v34, -v5
	v_add_f32_e32 v10, v20, v25
	v_fma_f32 v32, 0xbf167918, v32, -v9
	v_dual_mul_f32 v28, 0xbf167918, v14 :: v_dual_add_f32 v5, v19, v23
	s_delay_alu instid0(VALU_DEP_4) | instskip(SKIP_1) | instid1(VALU_DEP_3)
	v_add_f32_e32 v11, v21, v31
	v_sub_f32_e32 v21, v21, v31
	v_dual_add_f32 v13, v29, v32 :: v_dual_fmac_f32 v28, 0x3f4f1bbd, v7
	v_mul_f32_e32 v30, 0xbf737871, v15
	v_sub_f32_e32 v14, v18, v26
	s_delay_alu instid0(VALU_DEP_3) | instskip(NEXT) | instid1(VALU_DEP_3)
	v_dual_sub_f32 v20, v20, v25 :: v_dual_add_f32 v7, v38, v28
	v_fmac_f32_e32 v30, 0x3e9e377a, v16
	v_mul_f32_e32 v22, 0x3f737871, v16
	v_add_f32_e32 v12, v24, v27
	s_delay_alu instid0(VALU_DEP_3) | instskip(NEXT) | instid1(VALU_DEP_3)
	v_dual_sub_f32 v16, v36, v17 :: v_dual_add_f32 v9, v39, v30
	v_fmac_f32_e32 v22, 0x3e9e377a, v15
	v_sub_f32_e32 v15, v19, v23
	v_sub_f32_e32 v19, v39, v30
	;; [unrolled: 1-line block ×3, first 2 shown]
	s_delay_alu instid0(VALU_DEP_4)
	v_dual_sub_f32 v17, v38, v28 :: v_dual_add_f32 v8, v37, v22
	v_sub_f32_e32 v18, v37, v22
	v_mad_u32_u24 v37, 0x48, v2, v1
	v_sub_f32_e32 v22, v24, v27
	ds_store_2addr_b64 v37, v[4:5], v[6:7] offset1:1
	ds_store_2addr_b64 v37, v[8:9], v[10:11] offset0:2 offset1:3
	ds_store_2addr_b64 v37, v[12:13], v[14:15] offset0:4 offset1:5
	;; [unrolled: 1-line block ×4, first 2 shown]
	v_lshlrev_b32_e32 v4, 5, v2
	global_wb scope:SCOPE_SE
	s_wait_dscnt 0x0
	s_barrier_signal -1
	s_barrier_wait -1
	global_inv scope:SCOPE_SE
	global_load_b128 v[5:8], v4, s[4:5]
	v_add_nc_u32_e32 v17, 0xa0, v4
	s_clause 0x2
	global_load_b128 v[9:12], v4, s[4:5] offset:16
	global_load_b128 v[13:16], v17, s[4:5]
	global_load_b128 v[17:20], v17, s[4:5] offset:16
	v_mul_hi_u32 v4, 0x1999999a, v0
	v_mad_i32_i24 v39, 0xffffffb8, v2, v37
	s_mov_b32 s5, 0
	s_delay_alu instid0(VALU_DEP_2) | instskip(NEXT) | instid1(VALU_DEP_1)
	v_mul_u32_u24_e32 v21, 10, v4
	v_sub_nc_u32_e32 v0, v0, v21
	ds_load_b64 v[33:34], v1 offset:80
	ds_load_2addr_b64 v[21:24], v1 offset0:20 offset1:25
	ds_load_2addr_b64 v[25:28], v1 offset0:30 offset1:35
	;; [unrolled: 1-line block ×3, first 2 shown]
	ds_load_2addr_b32 v[35:36], v1 offset0:30 offset1:31
	ds_load_b64 v[2:3], v3
	s_wait_loadcnt_dscnt 0x304
	v_dual_mul_f32 v41, v8, v22 :: v_dual_add_nc_u32 v38, s14, v0
	v_mul_f32_e32 v40, v6, v34
	s_wait_loadcnt_dscnt 0x202
	v_dual_mul_f32 v6, v6, v33 :: v_dual_mul_f32 v43, v12, v30
	s_delay_alu instid0(VALU_DEP_3)
	v_cmp_gt_u32_e32 vcc_lo, s12, v38
	ds_load_b64 v[37:38], v39 offset:40
	s_wait_loadcnt 0x1
	v_mul_f32_e32 v45, v24, v16
	v_mul_f32_e32 v16, v23, v16
	s_wait_loadcnt 0x0
	v_dual_mul_f32 v47, v32, v20 :: v_dual_fmac_f32 v6, v5, v34
	v_mul_f32_e32 v12, v12, v29
	v_mul_f32_e32 v8, v8, v21
	v_fma_f32 v33, v5, v33, -v40
	v_fma_f32 v5, v7, v21, -v41
	;; [unrolled: 1-line block ×3, first 2 shown]
	s_wait_dscnt 0x1
	v_add_f32_e32 v29, v3, v6
	v_mul_f32_e32 v42, v10, v26
	v_fmac_f32_e32 v12, v11, v30
	v_fma_f32 v11, v23, v15, -v45
	v_mul_f32_e32 v10, v10, v25
	v_fmac_f32_e32 v16, v24, v15
	v_fma_f32 v15, v31, v19, -v47
	v_mul_f32_e32 v20, v31, v20
	v_mul_f32_e32 v44, v36, v14
	v_dual_fmac_f32 v8, v7, v22 :: v_dual_sub_f32 v31, v33, v21
	v_fma_f32 v7, v9, v25, -v42
	s_delay_alu instid0(VALU_DEP_4)
	v_fmac_f32_e32 v20, v32, v19
	v_fmac_f32_e32 v10, v9, v26
	v_mul_f32_e32 v14, v14, v35
	v_fma_f32 v9, v13, v35, -v44
	v_add_f32_e32 v19, v5, v7
	v_sub_f32_e32 v25, v21, v7
	v_sub_f32_e32 v23, v8, v10
	v_fmac_f32_e32 v14, v36, v13
	v_mul_f32_e32 v46, v28, v18
	v_dual_mul_f32 v18, v27, v18 :: v_dual_add_f32 v47, v9, v15
	s_wait_dscnt 0x0
	v_add_f32_e32 v41, v37, v9
	v_sub_f32_e32 v43, v14, v20
	v_fma_f32 v13, v27, v17, -v46
	v_fmac_f32_e32 v18, v28, v17
	v_add_f32_e32 v17, v2, v33
	v_add_f32_e32 v26, v33, v21
	v_sub_f32_e32 v27, v5, v33
	v_sub_f32_e32 v53, v11, v13
	;; [unrolled: 1-line block ×3, first 2 shown]
	v_dual_add_f32 v17, v17, v5 :: v_dual_sub_f32 v22, v6, v12
	v_sub_f32_e32 v24, v33, v5
	v_dual_sub_f32 v32, v5, v7 :: v_dual_add_f32 v35, v6, v12
	v_dual_add_f32 v42, v11, v13 :: v_dual_sub_f32 v45, v9, v11
	v_sub_f32_e32 v48, v11, v9
	v_dual_sub_f32 v52, v9, v15 :: v_dual_sub_f32 v9, v14, v16
	v_sub_f32_e32 v33, v6, v8
	v_add_f32_e32 v55, v14, v20
	v_fma_f32 v5, -0.5, v19, v2
	v_add_f32_e32 v19, v24, v25
	v_dual_add_f32 v30, v8, v10 :: v_dual_add_f32 v11, v41, v11
	v_dual_sub_f32 v34, v12, v10 :: v_dual_sub_f32 v49, v13, v15
	v_add_f32_e32 v24, v27, v28
	v_fma_f32 v27, -0.5, v42, v37
	v_sub_f32_e32 v36, v8, v6
	v_add_f32_e32 v8, v29, v8
	v_fma_f32 v6, -0.5, v30, v3
	v_dual_fmac_f32 v3, -0.5, v35 :: v_dual_sub_f32 v56, v18, v20
	v_fma_f32 v29, -0.5, v47, v37
	v_sub_f32_e32 v46, v15, v13
	v_add_f32_e32 v13, v11, v13
	v_add_f32_e32 v25, v33, v34
	;; [unrolled: 1-line block ×3, first 2 shown]
	v_sub_f32_e32 v14, v16, v14
	s_delay_alu instid0(VALU_DEP_4) | instskip(SKIP_2) | instid1(VALU_DEP_3)
	v_dual_sub_f32 v40, v10, v12 :: v_dual_add_f32 v13, v13, v15
	v_fma_f32 v2, -0.5, v26, v2
	s_or_b32 s4, s7, vcc_lo
	v_add_f32_e32 v35, v14, v56
	v_dual_add_f32 v51, v16, v18 :: v_dual_add_f32 v14, v17, v7
	v_fmamk_f32 v7, v22, 0x3f737871, v5
	v_fmac_f32_e32 v5, 0xbf737871, v22
	v_add_f32_e32 v17, v8, v10
	s_delay_alu instid0(VALU_DEP_4) | instskip(SKIP_1) | instid1(VALU_DEP_4)
	v_fma_f32 v33, -0.5, v51, v38
	v_dual_add_f32 v11, v14, v21 :: v_dual_sub_f32 v44, v16, v18
	v_dual_fmac_f32 v5, 0xbf167918, v23 :: v_dual_add_f32 v16, v50, v16
	v_fmamk_f32 v10, v32, 0x3f737871, v3
	v_dual_fmac_f32 v3, 0xbf737871, v32 :: v_dual_sub_f32 v54, v20, v18
	s_delay_alu instid0(VALU_DEP_3) | instskip(SKIP_1) | instid1(VALU_DEP_3)
	v_dual_fmac_f32 v5, 0x3e9e377a, v19 :: v_dual_add_f32 v16, v16, v18
	v_fmamk_f32 v18, v52, 0xbf737871, v33
	v_fmac_f32_e32 v3, 0x3f167918, v31
	v_fmac_f32_e32 v33, 0x3f737871, v52
	v_fmamk_f32 v37, v44, 0xbf737871, v29
	v_add_f32_e32 v26, v36, v40
	v_fmamk_f32 v8, v31, 0xbf737871, v6
	v_fmac_f32_e32 v6, 0x3f737871, v31
	v_dual_fmac_f32 v33, 0x3f167918, v53 :: v_dual_fmac_f32 v38, -0.5, v55
	s_delay_alu instid0(VALU_DEP_4)
	v_fmac_f32_e32 v3, 0x3e9e377a, v26
	v_dual_fmac_f32 v37, 0x3f167918, v43 :: v_dual_add_f32 v34, v9, v54
	v_fmamk_f32 v9, v23, 0xbf737871, v2
	v_fmac_f32_e32 v2, 0x3f737871, v23
	v_fmamk_f32 v36, v43, 0x3f737871, v27
	v_fmac_f32_e32 v27, 0xbf737871, v43
	v_dual_fmac_f32 v29, 0x3f737871, v44 :: v_dual_fmamk_f32 v40, v53, 0x3f737871, v38
	v_fmac_f32_e32 v38, 0xbf737871, v53
	v_fmac_f32_e32 v7, 0x3f167918, v23
	;; [unrolled: 1-line block ×7, first 2 shown]
	v_dual_fmac_f32 v9, 0x3e9e377a, v24 :: v_dual_add_f32 v28, v45, v46
	v_fmac_f32_e32 v27, 0xbf167918, v44
	v_fmac_f32_e32 v36, 0x3f167918, v44
	;; [unrolled: 1-line block ×3, first 2 shown]
	v_dual_add_f32 v30, v48, v49 :: v_dual_fmac_f32 v7, 0x3e9e377a, v19
	v_dual_add_f32 v12, v17, v12 :: v_dual_fmac_f32 v29, 0xbf167918, v43
	v_fmac_f32_e32 v40, 0xbf167918, v52
	s_delay_alu instid0(VALU_DEP_3)
	v_fmac_f32_e32 v37, 0x3e9e377a, v30
	v_fmac_f32_e32 v38, 0x3f167918, v52
	;; [unrolled: 1-line block ×4, first 2 shown]
	v_dual_fmac_f32 v2, 0x3e9e377a, v24 :: v_dual_fmac_f32 v33, 0x3e9e377a, v34
	v_fmac_f32_e32 v6, 0x3e9e377a, v25
	v_dual_add_f32 v14, v16, v20 :: v_dual_fmac_f32 v29, 0x3e9e377a, v30
	v_fmac_f32_e32 v36, 0x3e9e377a, v28
	v_fmac_f32_e32 v18, 0x3e9e377a, v34
	global_wb scope:SCOPE_SE
	s_barrier_signal -1
	s_barrier_wait -1
	global_inv scope:SCOPE_SE
	v_dual_fmac_f32 v27, 0x3e9e377a, v28 :: v_dual_fmac_f32 v40, 0x3e9e377a, v35
	v_fmac_f32_e32 v38, 0x3e9e377a, v35
	ds_store_b64 v39, v[11:12]
	ds_store_2addr_b64 v1, v[7:8], v[9:10] offset0:10 offset1:20
	ds_store_2addr_b64 v1, v[2:3], v[5:6] offset0:30 offset1:40
	ds_store_b64 v39, v[13:14] offset:40
	ds_store_2addr_b32 v39, v36, v18 offset0:30 offset1:31
	ds_store_2addr_b32 v39, v37, v40 offset0:50 offset1:51
	;; [unrolled: 1-line block ×4, first 2 shown]
	global_wb scope:SCOPE_SE
	s_wait_dscnt 0x0
	s_barrier_signal -1
	s_barrier_wait -1
	global_inv scope:SCOPE_SE
	s_and_saveexec_b32 s7, s4
	s_cbranch_execz .LBB0_9
; %bb.8:
	v_mad_co_u64_u32 v[5:6], null, s8, v0, 0
	s_load_b64 s[0:1], s[0:1], 0x60
	v_mul_i32_i24_e32 v2, 0x190, v0
	s_mov_b32 s15, s5
	s_mul_i32 s4, s13, s10
	v_mul_lo_u32 v12, v4, s6
	s_mul_i32 s10, s6, 5
	s_delay_alu instid0(VALU_DEP_3)
	v_mov_b32_e32 v1, v6
	s_wait_alu 0xfffe
	s_mul_u64 s[6:7], s[8:9], s[14:15]
	s_mul_u64 s[2:3], s[20:21], s[2:3]
	s_wait_alu 0xfffe
	s_lshl_b64 s[6:7], s[6:7], 3
	v_mov_b32_e32 v13, 0
	v_mad_co_u64_u32 v[0:1], null, s9, v0, v[1:2]
	v_lshlrev_b32_e32 v1, 3, v4
	s_lshl_b64 s[4:5], s[4:5], 3
	s_lshl_b64 s[2:3], s[2:3], 3
	v_lshlrev_b64_e32 v[7:8], 3, v[12:13]
	v_add_nc_u32_e32 v12, s10, v12
	v_add3_u32 v22, 0, v2, v1
	v_mov_b32_e32 v6, v0
	s_wait_kmcnt 0x0
	s_wait_alu 0xfffe
	s_add_nc_u64 s[0:1], s[0:1], s[6:7]
	s_delay_alu instid0(SALU_CYCLE_1)
	s_add_nc_u64 s[0:1], s[0:1], s[4:5]
	ds_load_2addr_b64 v[0:3], v22 offset1:5
	v_lshlrev_b64_e32 v[4:5], 3, v[5:6]
	s_add_nc_u64 s[0:1], s[0:1], s[2:3]
	v_lshlrev_b64_e32 v[9:10], 3, v[12:13]
	v_add_nc_u32_e32 v12, s10, v12
	s_delay_alu instid0(VALU_DEP_3) | instskip(SKIP_2) | instid1(VALU_DEP_3)
	v_add_co_u32 v23, vcc_lo, s0, v4
	s_wait_alu 0xfffd
	v_add_co_ci_u32_e32 v24, vcc_lo, s1, v5, vcc_lo
	v_lshlrev_b64_e32 v[14:15], 3, v[12:13]
	s_delay_alu instid0(VALU_DEP_3) | instskip(SKIP_1) | instid1(VALU_DEP_3)
	v_add_co_u32 v4, vcc_lo, v23, v7
	s_wait_alu 0xfffd
	v_add_co_ci_u32_e32 v5, vcc_lo, v24, v8, vcc_lo
	v_add_nc_u32_e32 v12, s10, v12
	s_wait_dscnt 0x0
	global_store_b64 v[4:5], v[0:1], off
	v_add_co_u32 v0, vcc_lo, v23, v9
	ds_load_2addr_b64 v[4:7], v22 offset0:10 offset1:15
	s_wait_alu 0xfffd
	v_add_co_ci_u32_e32 v1, vcc_lo, v24, v10, vcc_lo
	ds_load_2addr_b64 v[8:11], v22 offset0:20 offset1:25
	v_lshlrev_b64_e32 v[16:17], 3, v[12:13]
	v_add_nc_u32_e32 v12, s10, v12
	v_add_co_u32 v14, vcc_lo, v23, v14
	s_wait_alu 0xfffd
	v_add_co_ci_u32_e32 v15, vcc_lo, v24, v15, vcc_lo
	s_delay_alu instid0(VALU_DEP_3) | instskip(SKIP_4) | instid1(VALU_DEP_3)
	v_lshlrev_b64_e32 v[18:19], 3, v[12:13]
	v_add_nc_u32_e32 v12, s10, v12
	v_add_co_u32 v16, vcc_lo, v23, v16
	s_wait_alu 0xfffd
	v_add_co_ci_u32_e32 v17, vcc_lo, v24, v17, vcc_lo
	v_lshlrev_b64_e32 v[20:21], 3, v[12:13]
	v_add_nc_u32_e32 v12, s10, v12
	v_add_co_u32 v18, vcc_lo, v23, v18
	s_wait_alu 0xfffd
	v_add_co_ci_u32_e32 v19, vcc_lo, v24, v19, vcc_lo
	global_store_b64 v[0:1], v[2:3], off
	s_wait_dscnt 0x1
	s_clause 0x1
	global_store_b64 v[14:15], v[4:5], off
	global_store_b64 v[16:17], v[6:7], off
	s_wait_dscnt 0x0
	global_store_b64 v[18:19], v[8:9], off
	v_lshlrev_b64_e32 v[8:9], 3, v[12:13]
	v_add_nc_u32_e32 v12, s10, v12
	ds_load_2addr_b64 v[0:3], v22 offset0:30 offset1:35
	ds_load_2addr_b64 v[4:7], v22 offset0:40 offset1:45
	v_add_co_u32 v14, vcc_lo, v23, v20
	v_lshlrev_b64_e32 v[16:17], 3, v[12:13]
	v_add_nc_u32_e32 v12, s10, v12
	s_wait_alu 0xfffd
	v_add_co_ci_u32_e32 v15, vcc_lo, v24, v21, vcc_lo
	v_add_co_u32 v8, vcc_lo, v23, v8
	s_delay_alu instid0(VALU_DEP_3) | instskip(SKIP_4) | instid1(VALU_DEP_3)
	v_lshlrev_b64_e32 v[18:19], 3, v[12:13]
	v_add_nc_u32_e32 v12, s10, v12
	s_wait_alu 0xfffd
	v_add_co_ci_u32_e32 v9, vcc_lo, v24, v9, vcc_lo
	v_add_co_u32 v16, vcc_lo, v23, v16
	v_lshlrev_b64_e32 v[12:13], 3, v[12:13]
	s_wait_alu 0xfffd
	v_add_co_ci_u32_e32 v17, vcc_lo, v24, v17, vcc_lo
	v_add_co_u32 v18, vcc_lo, v23, v18
	s_wait_alu 0xfffd
	v_add_co_ci_u32_e32 v19, vcc_lo, v24, v19, vcc_lo
	v_add_co_u32 v12, vcc_lo, v23, v12
	s_wait_alu 0xfffd
	v_add_co_ci_u32_e32 v13, vcc_lo, v24, v13, vcc_lo
	global_store_b64 v[14:15], v[10:11], off
	s_wait_dscnt 0x1
	s_clause 0x1
	global_store_b64 v[8:9], v[0:1], off
	global_store_b64 v[16:17], v[2:3], off
	s_wait_dscnt 0x0
	s_clause 0x1
	global_store_b64 v[18:19], v[4:5], off
	global_store_b64 v[12:13], v[6:7], off
.LBB0_9:
	s_nop 0
	s_sendmsg sendmsg(MSG_DEALLOC_VGPRS)
	s_endpgm
	.section	.rodata,"a",@progbits
	.p2align	6, 0x0
	.amdhsa_kernel fft_rtc_fwd_len50_factors_10_5_wgs_50_tpt_5_sp_op_CI_CI_sbrc_z_xy_unaligned
		.amdhsa_group_segment_fixed_size 0
		.amdhsa_private_segment_fixed_size 0
		.amdhsa_kernarg_size 104
		.amdhsa_user_sgpr_count 2
		.amdhsa_user_sgpr_dispatch_ptr 0
		.amdhsa_user_sgpr_queue_ptr 0
		.amdhsa_user_sgpr_kernarg_segment_ptr 1
		.amdhsa_user_sgpr_dispatch_id 0
		.amdhsa_user_sgpr_private_segment_size 0
		.amdhsa_wavefront_size32 1
		.amdhsa_uses_dynamic_stack 0
		.amdhsa_enable_private_segment 0
		.amdhsa_system_sgpr_workgroup_id_x 1
		.amdhsa_system_sgpr_workgroup_id_y 0
		.amdhsa_system_sgpr_workgroup_id_z 0
		.amdhsa_system_sgpr_workgroup_info 0
		.amdhsa_system_vgpr_workitem_id 0
		.amdhsa_next_free_vgpr 57
		.amdhsa_next_free_sgpr 28
		.amdhsa_reserve_vcc 1
		.amdhsa_float_round_mode_32 0
		.amdhsa_float_round_mode_16_64 0
		.amdhsa_float_denorm_mode_32 3
		.amdhsa_float_denorm_mode_16_64 3
		.amdhsa_fp16_overflow 0
		.amdhsa_workgroup_processor_mode 1
		.amdhsa_memory_ordered 1
		.amdhsa_forward_progress 0
		.amdhsa_round_robin_scheduling 0
		.amdhsa_exception_fp_ieee_invalid_op 0
		.amdhsa_exception_fp_denorm_src 0
		.amdhsa_exception_fp_ieee_div_zero 0
		.amdhsa_exception_fp_ieee_overflow 0
		.amdhsa_exception_fp_ieee_underflow 0
		.amdhsa_exception_fp_ieee_inexact 0
		.amdhsa_exception_int_div_zero 0
	.end_amdhsa_kernel
	.text
.Lfunc_end0:
	.size	fft_rtc_fwd_len50_factors_10_5_wgs_50_tpt_5_sp_op_CI_CI_sbrc_z_xy_unaligned, .Lfunc_end0-fft_rtc_fwd_len50_factors_10_5_wgs_50_tpt_5_sp_op_CI_CI_sbrc_z_xy_unaligned
                                        ; -- End function
	.section	.AMDGPU.csdata,"",@progbits
; Kernel info:
; codeLenInByte = 4320
; NumSgprs: 30
; NumVgprs: 57
; ScratchSize: 0
; MemoryBound: 0
; FloatMode: 240
; IeeeMode: 1
; LDSByteSize: 0 bytes/workgroup (compile time only)
; SGPRBlocks: 3
; VGPRBlocks: 7
; NumSGPRsForWavesPerEU: 30
; NumVGPRsForWavesPerEU: 57
; Occupancy: 16
; WaveLimiterHint : 1
; COMPUTE_PGM_RSRC2:SCRATCH_EN: 0
; COMPUTE_PGM_RSRC2:USER_SGPR: 2
; COMPUTE_PGM_RSRC2:TRAP_HANDLER: 0
; COMPUTE_PGM_RSRC2:TGID_X_EN: 1
; COMPUTE_PGM_RSRC2:TGID_Y_EN: 0
; COMPUTE_PGM_RSRC2:TGID_Z_EN: 0
; COMPUTE_PGM_RSRC2:TIDIG_COMP_CNT: 0
	.text
	.p2alignl 7, 3214868480
	.fill 96, 4, 3214868480
	.type	__hip_cuid_3ac7cd95c049ba79,@object ; @__hip_cuid_3ac7cd95c049ba79
	.section	.bss,"aw",@nobits
	.globl	__hip_cuid_3ac7cd95c049ba79
__hip_cuid_3ac7cd95c049ba79:
	.byte	0                               ; 0x0
	.size	__hip_cuid_3ac7cd95c049ba79, 1

	.ident	"AMD clang version 19.0.0git (https://github.com/RadeonOpenCompute/llvm-project roc-6.4.0 25133 c7fe45cf4b819c5991fe208aaa96edf142730f1d)"
	.section	".note.GNU-stack","",@progbits
	.addrsig
	.addrsig_sym __hip_cuid_3ac7cd95c049ba79
	.amdgpu_metadata
---
amdhsa.kernels:
  - .args:
      - .actual_access:  read_only
        .address_space:  global
        .offset:         0
        .size:           8
        .value_kind:     global_buffer
      - .offset:         8
        .size:           8
        .value_kind:     by_value
      - .actual_access:  read_only
        .address_space:  global
        .offset:         16
        .size:           8
        .value_kind:     global_buffer
      - .actual_access:  read_only
        .address_space:  global
        .offset:         24
        .size:           8
        .value_kind:     global_buffer
      - .actual_access:  read_only
        .address_space:  global
        .offset:         32
        .size:           8
        .value_kind:     global_buffer
      - .offset:         40
        .size:           8
        .value_kind:     by_value
      - .actual_access:  read_only
        .address_space:  global
        .offset:         48
        .size:           8
        .value_kind:     global_buffer
      - .actual_access:  read_only
        .address_space:  global
        .offset:         56
        .size:           8
        .value_kind:     global_buffer
      - .offset:         64
        .size:           4
        .value_kind:     by_value
      - .actual_access:  read_only
        .address_space:  global
        .offset:         72
        .size:           8
        .value_kind:     global_buffer
      - .actual_access:  read_only
        .address_space:  global
        .offset:         80
        .size:           8
        .value_kind:     global_buffer
      - .actual_access:  read_only
        .address_space:  global
        .offset:         88
        .size:           8
        .value_kind:     global_buffer
      - .actual_access:  write_only
        .address_space:  global
        .offset:         96
        .size:           8
        .value_kind:     global_buffer
    .group_segment_fixed_size: 0
    .kernarg_segment_align: 8
    .kernarg_segment_size: 104
    .language:       OpenCL C
    .language_version:
      - 2
      - 0
    .max_flat_workgroup_size: 50
    .name:           fft_rtc_fwd_len50_factors_10_5_wgs_50_tpt_5_sp_op_CI_CI_sbrc_z_xy_unaligned
    .private_segment_fixed_size: 0
    .sgpr_count:     30
    .sgpr_spill_count: 0
    .symbol:         fft_rtc_fwd_len50_factors_10_5_wgs_50_tpt_5_sp_op_CI_CI_sbrc_z_xy_unaligned.kd
    .uniform_work_group_size: 1
    .uses_dynamic_stack: false
    .vgpr_count:     57
    .vgpr_spill_count: 0
    .wavefront_size: 32
    .workgroup_processor_mode: 1
amdhsa.target:   amdgcn-amd-amdhsa--gfx1201
amdhsa.version:
  - 1
  - 2
...

	.end_amdgpu_metadata
